;; amdgpu-corpus repo=ROCm/rocFFT kind=compiled arch=gfx1100 opt=O3
	.text
	.amdgcn_target "amdgcn-amd-amdhsa--gfx1100"
	.amdhsa_code_object_version 6
	.protected	fft_rtc_back_len1372_factors_2_2_7_7_7_wgs_196_tpt_98_halfLds_half_op_CI_CI_unitstride_sbrr_dirReg ; -- Begin function fft_rtc_back_len1372_factors_2_2_7_7_7_wgs_196_tpt_98_halfLds_half_op_CI_CI_unitstride_sbrr_dirReg
	.globl	fft_rtc_back_len1372_factors_2_2_7_7_7_wgs_196_tpt_98_halfLds_half_op_CI_CI_unitstride_sbrr_dirReg
	.p2align	8
	.type	fft_rtc_back_len1372_factors_2_2_7_7_7_wgs_196_tpt_98_halfLds_half_op_CI_CI_unitstride_sbrr_dirReg,@function
fft_rtc_back_len1372_factors_2_2_7_7_7_wgs_196_tpt_98_halfLds_half_op_CI_CI_unitstride_sbrr_dirReg: ; @fft_rtc_back_len1372_factors_2_2_7_7_7_wgs_196_tpt_98_halfLds_half_op_CI_CI_unitstride_sbrr_dirReg
; %bb.0:
	s_clause 0x2
	s_load_b128 s[8:11], s[0:1], 0x0
	s_load_b128 s[4:7], s[0:1], 0x58
	;; [unrolled: 1-line block ×3, first 2 shown]
	v_mul_u32_u24_e32 v1, 0x29d, v0
	v_mov_b32_e32 v7, 0
	v_mov_b32_e32 v5, 0
	;; [unrolled: 1-line block ×3, first 2 shown]
	s_delay_alu instid0(VALU_DEP_4) | instskip(NEXT) | instid1(VALU_DEP_4)
	v_lshrrev_b32_e32 v11, 16, v1
	v_mov_b32_e32 v10, v7
	s_delay_alu instid0(VALU_DEP_2) | instskip(SKIP_2) | instid1(VALU_DEP_1)
	v_lshl_add_u32 v9, s15, 1, v11
	s_waitcnt lgkmcnt(0)
	v_cmp_lt_u64_e64 s2, s[10:11], 2
	s_and_b32 vcc_lo, exec_lo, s2
	s_cbranch_vccnz .LBB0_8
; %bb.1:
	s_load_b64 s[2:3], s[0:1], 0x10
	v_mov_b32_e32 v5, 0
	v_mov_b32_e32 v6, 0
	s_add_u32 s12, s18, 8
	s_addc_u32 s13, s19, 0
	s_add_u32 s14, s16, 8
	s_delay_alu instid0(VALU_DEP_1)
	v_dual_mov_b32 v1, v5 :: v_dual_mov_b32 v2, v6
	s_addc_u32 s15, s17, 0
	s_mov_b64 s[22:23], 1
	s_waitcnt lgkmcnt(0)
	s_add_u32 s20, s2, 8
	s_addc_u32 s21, s3, 0
.LBB0_2:                                ; =>This Inner Loop Header: Depth=1
	s_load_b64 s[24:25], s[20:21], 0x0
                                        ; implicit-def: $vgpr3_vgpr4
	s_mov_b32 s2, exec_lo
	s_waitcnt lgkmcnt(0)
	v_or_b32_e32 v8, s25, v10
	s_delay_alu instid0(VALU_DEP_1)
	v_cmpx_ne_u64_e32 0, v[7:8]
	s_xor_b32 s3, exec_lo, s2
	s_cbranch_execz .LBB0_4
; %bb.3:                                ;   in Loop: Header=BB0_2 Depth=1
	v_cvt_f32_u32_e32 v3, s24
	v_cvt_f32_u32_e32 v4, s25
	s_sub_u32 s2, 0, s24
	s_subb_u32 s26, 0, s25
	s_delay_alu instid0(VALU_DEP_1) | instskip(NEXT) | instid1(VALU_DEP_1)
	v_fmac_f32_e32 v3, 0x4f800000, v4
	v_rcp_f32_e32 v3, v3
	s_waitcnt_depctr 0xfff
	v_mul_f32_e32 v3, 0x5f7ffffc, v3
	s_delay_alu instid0(VALU_DEP_1) | instskip(NEXT) | instid1(VALU_DEP_1)
	v_mul_f32_e32 v4, 0x2f800000, v3
	v_trunc_f32_e32 v4, v4
	s_delay_alu instid0(VALU_DEP_1) | instskip(SKIP_1) | instid1(VALU_DEP_2)
	v_fmac_f32_e32 v3, 0xcf800000, v4
	v_cvt_u32_f32_e32 v4, v4
	v_cvt_u32_f32_e32 v3, v3
	s_delay_alu instid0(VALU_DEP_2) | instskip(NEXT) | instid1(VALU_DEP_2)
	v_mul_lo_u32 v8, s2, v4
	v_mul_hi_u32 v12, s2, v3
	v_mul_lo_u32 v13, s26, v3
	s_delay_alu instid0(VALU_DEP_2) | instskip(SKIP_1) | instid1(VALU_DEP_2)
	v_add_nc_u32_e32 v8, v12, v8
	v_mul_lo_u32 v12, s2, v3
	v_add_nc_u32_e32 v8, v8, v13
	s_delay_alu instid0(VALU_DEP_2) | instskip(NEXT) | instid1(VALU_DEP_2)
	v_mul_hi_u32 v13, v3, v12
	v_mul_lo_u32 v14, v3, v8
	v_mul_hi_u32 v15, v3, v8
	v_mul_hi_u32 v16, v4, v12
	v_mul_lo_u32 v12, v4, v12
	v_mul_hi_u32 v17, v4, v8
	v_mul_lo_u32 v8, v4, v8
	v_add_co_u32 v13, vcc_lo, v13, v14
	v_add_co_ci_u32_e32 v14, vcc_lo, 0, v15, vcc_lo
	s_delay_alu instid0(VALU_DEP_2) | instskip(NEXT) | instid1(VALU_DEP_2)
	v_add_co_u32 v12, vcc_lo, v13, v12
	v_add_co_ci_u32_e32 v12, vcc_lo, v14, v16, vcc_lo
	v_add_co_ci_u32_e32 v13, vcc_lo, 0, v17, vcc_lo
	s_delay_alu instid0(VALU_DEP_2) | instskip(NEXT) | instid1(VALU_DEP_2)
	v_add_co_u32 v8, vcc_lo, v12, v8
	v_add_co_ci_u32_e32 v12, vcc_lo, 0, v13, vcc_lo
	s_delay_alu instid0(VALU_DEP_2) | instskip(NEXT) | instid1(VALU_DEP_2)
	v_add_co_u32 v3, vcc_lo, v3, v8
	v_add_co_ci_u32_e32 v4, vcc_lo, v4, v12, vcc_lo
	s_delay_alu instid0(VALU_DEP_2) | instskip(SKIP_1) | instid1(VALU_DEP_3)
	v_mul_hi_u32 v8, s2, v3
	v_mul_lo_u32 v13, s26, v3
	v_mul_lo_u32 v12, s2, v4
	s_delay_alu instid0(VALU_DEP_1) | instskip(SKIP_1) | instid1(VALU_DEP_2)
	v_add_nc_u32_e32 v8, v8, v12
	v_mul_lo_u32 v12, s2, v3
	v_add_nc_u32_e32 v8, v8, v13
	s_delay_alu instid0(VALU_DEP_2) | instskip(NEXT) | instid1(VALU_DEP_2)
	v_mul_hi_u32 v13, v3, v12
	v_mul_lo_u32 v14, v3, v8
	v_mul_hi_u32 v15, v3, v8
	v_mul_hi_u32 v16, v4, v12
	v_mul_lo_u32 v12, v4, v12
	v_mul_hi_u32 v17, v4, v8
	v_mul_lo_u32 v8, v4, v8
	v_add_co_u32 v13, vcc_lo, v13, v14
	v_add_co_ci_u32_e32 v14, vcc_lo, 0, v15, vcc_lo
	s_delay_alu instid0(VALU_DEP_2) | instskip(NEXT) | instid1(VALU_DEP_2)
	v_add_co_u32 v12, vcc_lo, v13, v12
	v_add_co_ci_u32_e32 v12, vcc_lo, v14, v16, vcc_lo
	v_add_co_ci_u32_e32 v13, vcc_lo, 0, v17, vcc_lo
	s_delay_alu instid0(VALU_DEP_2) | instskip(NEXT) | instid1(VALU_DEP_2)
	v_add_co_u32 v8, vcc_lo, v12, v8
	v_add_co_ci_u32_e32 v12, vcc_lo, 0, v13, vcc_lo
	s_delay_alu instid0(VALU_DEP_2) | instskip(NEXT) | instid1(VALU_DEP_2)
	v_add_co_u32 v8, vcc_lo, v3, v8
	v_add_co_ci_u32_e32 v16, vcc_lo, v4, v12, vcc_lo
	s_delay_alu instid0(VALU_DEP_2) | instskip(SKIP_1) | instid1(VALU_DEP_3)
	v_mul_hi_u32 v17, v9, v8
	v_mad_u64_u32 v[12:13], null, v10, v8, 0
	v_mad_u64_u32 v[3:4], null, v9, v16, 0
	;; [unrolled: 1-line block ×3, first 2 shown]
	s_delay_alu instid0(VALU_DEP_2) | instskip(NEXT) | instid1(VALU_DEP_3)
	v_add_co_u32 v3, vcc_lo, v17, v3
	v_add_co_ci_u32_e32 v4, vcc_lo, 0, v4, vcc_lo
	s_delay_alu instid0(VALU_DEP_2) | instskip(NEXT) | instid1(VALU_DEP_2)
	v_add_co_u32 v3, vcc_lo, v3, v12
	v_add_co_ci_u32_e32 v3, vcc_lo, v4, v13, vcc_lo
	v_add_co_ci_u32_e32 v4, vcc_lo, 0, v15, vcc_lo
	s_delay_alu instid0(VALU_DEP_2) | instskip(NEXT) | instid1(VALU_DEP_2)
	v_add_co_u32 v8, vcc_lo, v3, v14
	v_add_co_ci_u32_e32 v12, vcc_lo, 0, v4, vcc_lo
	s_delay_alu instid0(VALU_DEP_2) | instskip(SKIP_1) | instid1(VALU_DEP_3)
	v_mul_lo_u32 v13, s25, v8
	v_mad_u64_u32 v[3:4], null, s24, v8, 0
	v_mul_lo_u32 v14, s24, v12
	s_delay_alu instid0(VALU_DEP_2) | instskip(NEXT) | instid1(VALU_DEP_2)
	v_sub_co_u32 v3, vcc_lo, v9, v3
	v_add3_u32 v4, v4, v14, v13
	s_delay_alu instid0(VALU_DEP_1) | instskip(NEXT) | instid1(VALU_DEP_1)
	v_sub_nc_u32_e32 v13, v10, v4
	v_subrev_co_ci_u32_e64 v13, s2, s25, v13, vcc_lo
	v_add_co_u32 v14, s2, v8, 2
	s_delay_alu instid0(VALU_DEP_1) | instskip(SKIP_3) | instid1(VALU_DEP_3)
	v_add_co_ci_u32_e64 v15, s2, 0, v12, s2
	v_sub_co_u32 v16, s2, v3, s24
	v_sub_co_ci_u32_e32 v4, vcc_lo, v10, v4, vcc_lo
	v_subrev_co_ci_u32_e64 v13, s2, 0, v13, s2
	v_cmp_le_u32_e32 vcc_lo, s24, v16
	s_delay_alu instid0(VALU_DEP_3) | instskip(SKIP_1) | instid1(VALU_DEP_4)
	v_cmp_eq_u32_e64 s2, s25, v4
	v_cndmask_b32_e64 v16, 0, -1, vcc_lo
	v_cmp_le_u32_e32 vcc_lo, s25, v13
	v_cndmask_b32_e64 v17, 0, -1, vcc_lo
	v_cmp_le_u32_e32 vcc_lo, s24, v3
	;; [unrolled: 2-line block ×3, first 2 shown]
	v_cndmask_b32_e64 v18, 0, -1, vcc_lo
	v_cmp_eq_u32_e32 vcc_lo, s25, v13
	s_delay_alu instid0(VALU_DEP_2) | instskip(SKIP_3) | instid1(VALU_DEP_3)
	v_cndmask_b32_e64 v3, v18, v3, s2
	v_cndmask_b32_e32 v13, v17, v16, vcc_lo
	v_add_co_u32 v16, vcc_lo, v8, 1
	v_add_co_ci_u32_e32 v17, vcc_lo, 0, v12, vcc_lo
	v_cmp_ne_u32_e32 vcc_lo, 0, v13
	s_delay_alu instid0(VALU_DEP_2) | instskip(SKIP_1) | instid1(VALU_DEP_2)
	v_dual_cndmask_b32 v4, v17, v15 :: v_dual_cndmask_b32 v13, v16, v14
	v_cmp_ne_u32_e32 vcc_lo, 0, v3
	v_cndmask_b32_e32 v4, v12, v4, vcc_lo
	s_delay_alu instid0(VALU_DEP_3)
	v_cndmask_b32_e32 v3, v8, v13, vcc_lo
.LBB0_4:                                ;   in Loop: Header=BB0_2 Depth=1
	s_and_not1_saveexec_b32 s2, s3
	s_cbranch_execz .LBB0_6
; %bb.5:                                ;   in Loop: Header=BB0_2 Depth=1
	v_cvt_f32_u32_e32 v3, s24
	s_sub_i32 s3, 0, s24
	s_delay_alu instid0(VALU_DEP_1) | instskip(SKIP_2) | instid1(VALU_DEP_1)
	v_rcp_iflag_f32_e32 v3, v3
	s_waitcnt_depctr 0xfff
	v_mul_f32_e32 v3, 0x4f7ffffe, v3
	v_cvt_u32_f32_e32 v3, v3
	s_delay_alu instid0(VALU_DEP_1) | instskip(NEXT) | instid1(VALU_DEP_1)
	v_mul_lo_u32 v4, s3, v3
	v_mul_hi_u32 v4, v3, v4
	s_delay_alu instid0(VALU_DEP_1) | instskip(NEXT) | instid1(VALU_DEP_1)
	v_add_nc_u32_e32 v3, v3, v4
	v_mul_hi_u32 v3, v9, v3
	s_delay_alu instid0(VALU_DEP_1) | instskip(SKIP_1) | instid1(VALU_DEP_2)
	v_mul_lo_u32 v4, v3, s24
	v_add_nc_u32_e32 v8, 1, v3
	v_sub_nc_u32_e32 v4, v9, v4
	s_delay_alu instid0(VALU_DEP_1) | instskip(SKIP_1) | instid1(VALU_DEP_2)
	v_subrev_nc_u32_e32 v12, s24, v4
	v_cmp_le_u32_e32 vcc_lo, s24, v4
	v_cndmask_b32_e32 v4, v4, v12, vcc_lo
	v_cndmask_b32_e32 v3, v3, v8, vcc_lo
	s_delay_alu instid0(VALU_DEP_2) | instskip(NEXT) | instid1(VALU_DEP_2)
	v_cmp_le_u32_e32 vcc_lo, s24, v4
	v_add_nc_u32_e32 v8, 1, v3
	v_mov_b32_e32 v4, v7
	s_delay_alu instid0(VALU_DEP_2)
	v_cndmask_b32_e32 v3, v3, v8, vcc_lo
.LBB0_6:                                ;   in Loop: Header=BB0_2 Depth=1
	s_or_b32 exec_lo, exec_lo, s2
	s_delay_alu instid0(VALU_DEP_2) | instskip(NEXT) | instid1(VALU_DEP_2)
	v_mul_lo_u32 v8, v4, s24
	v_mul_lo_u32 v14, v3, s25
	s_load_b64 s[2:3], s[14:15], 0x0
	v_mad_u64_u32 v[12:13], null, v3, s24, 0
	s_load_b64 s[24:25], s[12:13], 0x0
	s_add_u32 s22, s22, 1
	s_addc_u32 s23, s23, 0
	s_add_u32 s12, s12, 8
	s_addc_u32 s13, s13, 0
	s_add_u32 s14, s14, 8
	s_delay_alu instid0(VALU_DEP_1) | instskip(SKIP_3) | instid1(VALU_DEP_2)
	v_add3_u32 v8, v13, v14, v8
	v_sub_co_u32 v14, vcc_lo, v9, v12
	s_addc_u32 s15, s15, 0
	s_add_u32 s20, s20, 8
	v_sub_co_ci_u32_e32 v10, vcc_lo, v10, v8, vcc_lo
	s_addc_u32 s21, s21, 0
	s_waitcnt lgkmcnt(0)
	s_delay_alu instid0(VALU_DEP_1)
	v_mul_lo_u32 v15, s2, v10
	v_mul_lo_u32 v16, s3, v14
	v_mad_u64_u32 v[8:9], null, s2, v14, v[5:6]
	v_mul_lo_u32 v10, s24, v10
	v_mul_lo_u32 v17, s25, v14
	v_mad_u64_u32 v[12:13], null, s24, v14, v[1:2]
	v_cmp_ge_u64_e64 s2, s[22:23], s[10:11]
	v_add3_u32 v6, v16, v9, v15
	v_mov_b32_e32 v5, v8
	s_delay_alu instid0(VALU_DEP_4)
	v_add3_u32 v2, v17, v13, v10
	v_mov_b32_e32 v1, v12
	s_and_b32 vcc_lo, exec_lo, s2
	s_cbranch_vccnz .LBB0_9
; %bb.7:                                ;   in Loop: Header=BB0_2 Depth=1
	v_dual_mov_b32 v10, v4 :: v_dual_mov_b32 v9, v3
	s_branch .LBB0_2
.LBB0_8:
	v_dual_mov_b32 v1, v5 :: v_dual_mov_b32 v2, v6
	v_dual_mov_b32 v3, v9 :: v_dual_mov_b32 v4, v10
.LBB0_9:
	s_load_b64 s[0:1], s[0:1], 0x28
	v_mul_hi_u32 v30, 0x29cbc15, v0
	s_lshl_b64 s[10:11], s[10:11], 3
                                        ; implicit-def: $sgpr12
                                        ; implicit-def: $vgpr7
	s_delay_alu instid0(SALU_CYCLE_1) | instskip(SKIP_4) | instid1(VALU_DEP_1)
	s_add_u32 s2, s18, s10
	s_addc_u32 s3, s19, s11
	s_waitcnt lgkmcnt(0)
	v_cmp_gt_u64_e32 vcc_lo, s[0:1], v[3:4]
	v_cmp_le_u64_e64 s0, s[0:1], v[3:4]
	s_and_saveexec_b32 s1, s0
	s_delay_alu instid0(SALU_CYCLE_1)
	s_xor_b32 s0, exec_lo, s1
; %bb.10:
	v_mul_u32_u24_e32 v5, 0x62, v30
	s_mov_b32 s12, 0
                                        ; implicit-def: $vgpr30
	s_delay_alu instid0(VALU_DEP_1)
	v_sub_nc_u32_e32 v7, v0, v5
                                        ; implicit-def: $vgpr0
                                        ; implicit-def: $vgpr5_vgpr6
; %bb.11:
	s_or_saveexec_b32 s1, s0
	v_dual_mov_b32 v15, s12 :: v_dual_mov_b32 v16, s12
	v_dual_mov_b32 v23, s12 :: v_dual_mov_b32 v10, s12
	v_mov_b32_e32 v19, s12
	v_mov_b32_e32 v13, s12
	;; [unrolled: 1-line block ×3, first 2 shown]
                                        ; implicit-def: $vgpr29
                                        ; implicit-def: $vgpr25
                                        ; implicit-def: $vgpr28
                                        ; implicit-def: $vgpr8
                                        ; implicit-def: $vgpr27
                                        ; implicit-def: $vgpr20
                                        ; implicit-def: $vgpr26
                                        ; implicit-def: $vgpr18
                                        ; implicit-def: $vgpr24
                                        ; implicit-def: $vgpr17
                                        ; implicit-def: $vgpr21
                                        ; implicit-def: $vgpr12
                                        ; implicit-def: $vgpr22
                                        ; implicit-def: $vgpr14
	s_xor_b32 exec_lo, exec_lo, s1
	s_cbranch_execz .LBB0_13
; %bb.12:
	s_add_u32 s10, s16, s10
	s_addc_u32 s11, s17, s11
	v_lshlrev_b64 v[5:6], 2, v[5:6]
	s_load_b64 s[10:11], s[10:11], 0x0
	s_waitcnt lgkmcnt(0)
	v_mul_lo_u32 v9, s11, v3
	v_mul_lo_u32 v10, s10, v4
	v_mad_u64_u32 v[7:8], null, s10, v3, 0
	s_delay_alu instid0(VALU_DEP_1) | instskip(SKIP_1) | instid1(VALU_DEP_2)
	v_add3_u32 v8, v8, v10, v9
	v_mul_u32_u24_e32 v10, 0x62, v30
	v_lshlrev_b64 v[8:9], 2, v[7:8]
	s_delay_alu instid0(VALU_DEP_2) | instskip(NEXT) | instid1(VALU_DEP_2)
	v_sub_nc_u32_e32 v7, v0, v10
	v_add_co_u32 v0, s0, s4, v8
	s_delay_alu instid0(VALU_DEP_1) | instskip(NEXT) | instid1(VALU_DEP_3)
	v_add_co_ci_u32_e64 v8, s0, s5, v9, s0
	v_lshlrev_b32_e32 v9, 2, v7
	s_delay_alu instid0(VALU_DEP_3) | instskip(NEXT) | instid1(VALU_DEP_1)
	v_add_co_u32 v0, s0, v0, v5
	v_add_co_ci_u32_e64 v6, s0, v8, v6, s0
	s_delay_alu instid0(VALU_DEP_2) | instskip(NEXT) | instid1(VALU_DEP_1)
	v_add_co_u32 v5, s0, v0, v9
	v_add_co_ci_u32_e64 v6, s0, 0, v6, s0
	s_delay_alu instid0(VALU_DEP_2) | instskip(NEXT) | instid1(VALU_DEP_1)
	v_add_co_u32 v9, s0, 0x1000, v5
	v_add_co_ci_u32_e64 v10, s0, 0, v6, s0
	s_clause 0xd
	global_load_b32 v25, v[5:6], off offset:2744
	global_load_b32 v8, v[5:6], off offset:3136
	global_load_b32 v20, v[5:6], off offset:3528
	global_load_b32 v18, v[5:6], off offset:3920
	global_load_b32 v17, v[9:10], off offset:216
	global_load_b32 v12, v[9:10], off offset:608
	global_load_b32 v14, v[9:10], off offset:1000
	global_load_b32 v15, v[5:6], off
	global_load_b32 v23, v[5:6], off offset:392
	global_load_b32 v19, v[5:6], off offset:784
	;; [unrolled: 1-line block ×6, first 2 shown]
	s_waitcnt vmcnt(13)
	v_lshrrev_b32_e32 v29, 16, v25
	s_waitcnt vmcnt(12)
	v_lshrrev_b32_e32 v28, 16, v8
	;; [unrolled: 2-line block ×7, first 2 shown]
.LBB0_13:
	s_or_b32 exec_lo, exec_lo, s1
	s_waitcnt vmcnt(6)
	v_lshrrev_b32_e32 v0, 16, v15
	v_and_b32_e32 v5, 1, v11
	v_sub_f16_e32 v11, v15, v25
	s_waitcnt vmcnt(5)
	v_lshrrev_b32_e32 v6, 16, v23
	s_waitcnt vmcnt(4)
	v_sub_f16_e32 v20, v19, v20
	v_sub_f16_e32 v25, v0, v29
	v_cmp_eq_u32_e64 s0, 1, v5
	v_fma_f16 v5, v15, 2.0, -v11
	v_sub_f16_e32 v28, v6, v28
	v_sub_f16_e32 v29, v23, v8
	v_fma_f16 v15, v0, 2.0, -v25
	v_lshrrev_b32_e32 v0, 16, v19
	v_cndmask_b32_e64 v8, 0, 0xab8, s0
	v_fma_f16 v31, v6, 2.0, -v28
	s_waitcnt vmcnt(1)
	v_lshrrev_b32_e32 v6, 16, v9
	v_sub_f16_e32 v18, v16, v18
	v_sub_f16_e32 v27, v0, v27
	s_waitcnt vmcnt(0)
	v_lshrrev_b32_e32 v33, 16, v10
	v_sub_f16_e32 v12, v9, v12
	v_sub_f16_e32 v21, v6, v21
	v_fma_f16 v19, v19, 2.0, -v20
	v_fma_f16 v32, v0, 2.0, -v27
	v_lshrrev_b32_e32 v0, 16, v13
	v_sub_f16_e32 v17, v13, v17
	v_lshrrev_b32_e32 v30, 16, v16
	v_fma_f16 v16, v16, 2.0, -v18
	v_fma_f16 v23, v23, 2.0, -v29
	v_sub_f16_e32 v24, v0, v24
	v_fma_f16 v35, v6, 2.0, -v21
	v_add_nc_u32_e32 v6, 0x62, v7
	v_add_nc_u32_e32 v38, 0xc4, v7
	v_add_nc_u32_e32 v39, 0x126, v7
	v_fma_f16 v34, v0, 2.0, -v24
	v_sub_f16_e32 v0, v10, v14
	v_sub_f16_e32 v14, v33, v22
	v_fma_f16 v22, v9, 2.0, -v12
	v_add_nc_u32_e32 v9, 0, v8
	v_fma_f16 v13, v13, 2.0, -v17
	v_pack_b32_f16 v19, v19, v20
	v_add_nc_u32_e32 v20, 0x188, v7
	v_fma_f16 v10, v10, 2.0, -v0
	v_lshl_add_u32 v37, v7, 2, v9
	v_pack_b32_f16 v5, v5, v11
	v_add_nc_u32_e32 v41, 0x1ea, v7
	v_pack_b32_f16 v16, v16, v18
	v_add_nc_u32_e32 v18, 0x24c, v7
	v_lshl_add_u32 v11, v6, 2, v9
	v_pack_b32_f16 v23, v23, v29
	v_lshl_add_u32 v29, v38, 2, v9
	v_sub_f16_e32 v26, v30, v26
	v_lshl_add_u32 v40, v39, 2, v9
	v_lshl_add_u32 v42, v20, 2, v9
	v_pack_b32_f16 v13, v13, v17
	v_pack_b32_f16 v12, v22, v12
	s_load_b64 s[2:3], s[2:3], 0x0
	v_lshlrev_b32_e32 v36, 1, v7
	v_lshl_add_u32 v17, v41, 2, v9
	v_lshl_add_u32 v22, v18, 2, v9
	v_pack_b32_f16 v0, v10, v0
	ds_store_b32 v37, v5
	ds_store_b32 v11, v23
	;; [unrolled: 1-line block ×7, first 2 shown]
	v_pack_b32_f16 v12, v15, v25
	v_pack_b32_f16 v25, v32, v27
	v_and_b32_e32 v27, 1, v7
	v_fma_f16 v30, v30, 2.0, -v26
	v_fma_f16 v33, v33, 2.0, -v14
	v_add_nc_u32_e32 v0, v9, v36
	v_pack_b32_f16 v15, v31, v28
	v_lshlrev_b32_e32 v28, 2, v27
	v_add3_u32 v5, 0, v36, v8
	v_pack_b32_f16 v26, v30, v26
	v_pack_b32_f16 v24, v34, v24
	s_waitcnt lgkmcnt(0)
	s_barrier
	buffer_gl0_inv
	ds_load_u16 v10, v0
	ds_load_u16 v13, v5 offset:196
	ds_load_u16 v16, v5 offset:392
	;; [unrolled: 1-line block ×13, first 2 shown]
	s_waitcnt lgkmcnt(0)
	s_barrier
	buffer_gl0_inv
	v_pack_b32_f16 v21, v35, v21
	v_pack_b32_f16 v14, v33, v14
	ds_store_b32 v37, v12
	ds_store_b32 v11, v15
	;; [unrolled: 1-line block ×7, first 2 shown]
	s_waitcnt lgkmcnt(0)
	s_barrier
	buffer_gl0_inv
	global_load_b32 v11, v28, s[8:9]
	v_lshlrev_b32_e32 v14, 1, v6
	v_lshlrev_b32_e32 v15, 1, v38
	;; [unrolled: 1-line block ×6, first 2 shown]
	ds_load_u16 v26, v5 offset:1372
	v_and_or_b32 v22, 0xfc, v36, v27
	v_and_or_b32 v14, 0x1fc, v14, v27
	;; [unrolled: 1-line block ×7, first 2 shown]
	ds_load_u16 v27, v5 offset:1568
	ds_load_u16 v29, v5 offset:1764
	;; [unrolled: 1-line block ×6, first 2 shown]
	ds_load_u16 v34, v0
	ds_load_u16 v35, v5 offset:196
	ds_load_u16 v36, v5 offset:392
	;; [unrolled: 1-line block ×6, first 2 shown]
	v_and_b32_e32 v12, 3, v7
	v_and_b32_e32 v28, 3, v6
	v_lshl_add_u32 v22, v22, 1, v9
	v_lshl_add_u32 v14, v14, 1, v9
	;; [unrolled: 1-line block ×3, first 2 shown]
	v_mul_u32_u24_e32 v24, 6, v12
	v_mul_u32_u24_e32 v25, 6, v28
	v_lshl_add_u32 v17, v17, 1, v9
	v_lshl_add_u32 v20, v20, 1, v9
	;; [unrolled: 1-line block ×3, first 2 shown]
	v_lshlrev_b32_e32 v24, 2, v24
	v_lshl_add_u32 v18, v18, 1, v9
	s_waitcnt vmcnt(0) lgkmcnt(0)
	s_barrier
	buffer_gl0_inv
	v_lshrrev_b32_e32 v40, 16, v11
	s_delay_alu instid0(VALU_DEP_1)
	v_mul_f16_e32 v42, v26, v40
	v_mul_f16_e32 v52, v44, v40
	;; [unrolled: 1-line block ×14, first 2 shown]
	v_fmac_f16_e32 v42, v44, v11
	v_fma_f16 v26, v26, v11, -v52
	v_fmac_f16_e32 v53, v46, v11
	v_fma_f16 v27, v27, v11, -v54
	;; [unrolled: 2-line block ×3, first 2 shown]
	v_fma_f16 v30, v30, v11, -v58
	v_fma_f16 v31, v31, v11, -v60
	v_fmac_f16_e32 v61, v50, v11
	v_fmac_f16_e32 v63, v51, v11
	;; [unrolled: 1-line block ×4, first 2 shown]
	v_fma_f16 v32, v32, v11, -v62
	v_fma_f16 v11, v33, v11, -v40
	v_sub_f16_e32 v33, v10, v42
	v_sub_f16_e32 v26, v34, v26
	;; [unrolled: 1-line block ×14, first 2 shown]
	v_fma_f16 v10, v10, 2.0, -v33
	v_fma_f16 v34, v34, 2.0, -v26
	;; [unrolled: 1-line block ×14, first 2 shown]
	ds_store_b16 v22, v10
	ds_store_b16 v22, v33 offset:4
	ds_store_b16 v14, v11
	ds_store_b16 v14, v40 offset:4
	ds_store_b16 v15, v16
	ds_store_b16 v15, v42 offset:4
	ds_store_b16 v17, v19
	ds_store_b16 v17, v44 offset:4
	ds_store_b16 v20, v23
	ds_store_b16 v20, v46 offset:4
	ds_store_b16 v21, v38
	ds_store_b16 v21, v47 offset:4
	ds_store_b16 v18, v43
	ds_store_b16 v18, v48 offset:4
	s_waitcnt lgkmcnt(0)
	s_barrier
	buffer_gl0_inv
	ds_load_u16 v11, v0
	ds_load_u16 v33, v5 offset:1568
	ds_load_u16 v38, v5 offset:1372
	;; [unrolled: 1-line block ×13, first 2 shown]
	s_waitcnt lgkmcnt(0)
	s_barrier
	buffer_gl0_inv
	ds_store_b16 v22, v34
	ds_store_b16 v22, v26 offset:4
	ds_store_b16 v14, v13
	ds_store_b16 v14, v27 offset:4
	;; [unrolled: 2-line block ×7, first 2 shown]
	v_lshlrev_b32_e32 v13, 2, v25
	s_waitcnt lgkmcnt(0)
	s_barrier
	buffer_gl0_inv
	s_clause 0x3
	global_load_b128 v[16:19], v24, s[8:9] offset:8
	global_load_b64 v[24:25], v24, s[8:9] offset:24
	global_load_b128 v[20:23], v13, s[8:9] offset:8
	global_load_b64 v[26:27], v13, s[8:9] offset:24
	v_lshrrev_b16 v13, 2, v7
	v_lshrrev_b16 v14, 2, v6
	v_lshrrev_b32_e32 v29, 2, v7
	v_lshrrev_b32_e32 v30, 2, v6
	s_delay_alu instid0(VALU_DEP_4) | instskip(NEXT) | instid1(VALU_DEP_4)
	v_and_b32_e32 v13, 63, v13
	v_and_b32_e32 v14, 63, v14
	s_delay_alu instid0(VALU_DEP_4) | instskip(NEXT) | instid1(VALU_DEP_4)
	v_mul_u32_u24_e32 v29, 28, v29
	v_mul_u32_u24_e32 v30, 28, v30
	s_delay_alu instid0(VALU_DEP_4) | instskip(NEXT) | instid1(VALU_DEP_3)
	v_mul_lo_u16 v13, v13, 37
	v_or_b32_e32 v29, v29, v12
	s_delay_alu instid0(VALU_DEP_3) | instskip(NEXT) | instid1(VALU_DEP_3)
	v_or_b32_e32 v28, v30, v28
	v_lshrrev_b16 v15, 8, v13
	v_mul_lo_u16 v13, v14, 37
	s_delay_alu instid0(VALU_DEP_4) | instskip(NEXT) | instid1(VALU_DEP_4)
	v_lshl_add_u32 v29, v29, 1, v9
	v_lshl_add_u32 v9, v28, 1, v9
	s_delay_alu instid0(VALU_DEP_4) | instskip(NEXT) | instid1(VALU_DEP_4)
	v_mul_lo_u16 v14, v15, 28
	v_lshrrev_b16 v13, 8, v13
	v_and_b32_e32 v15, 0xffff, v15
	s_delay_alu instid0(VALU_DEP_3) | instskip(NEXT) | instid1(VALU_DEP_3)
	v_sub_nc_u16 v14, v7, v14
	v_mul_lo_u16 v31, v13, 28
	v_and_b32_e32 v13, 0xffff, v13
	s_delay_alu instid0(VALU_DEP_4) | instskip(NEXT) | instid1(VALU_DEP_4)
	v_mad_u32_u24 v15, 0x188, v15, 0
	v_and_b32_e32 v14, 0xff, v14
	s_delay_alu instid0(VALU_DEP_4) | instskip(NEXT) | instid1(VALU_DEP_4)
	v_sub_nc_u16 v31, v6, v31
	v_mad_u32_u24 v13, 0x188, v13, 0
	s_delay_alu instid0(VALU_DEP_3) | instskip(NEXT) | instid1(VALU_DEP_3)
	v_mul_u32_u24_e32 v30, 6, v14
	v_and_b32_e32 v12, 0xff, v31
	ds_load_u16 v31, v0
	ds_load_u16 v32, v5 offset:1568
	ds_load_u16 v34, v5 offset:1372
	;; [unrolled: 1-line block ×13, first 2 shown]
	s_waitcnt vmcnt(0) lgkmcnt(0)
	s_barrier
	v_lshlrev_b32_e32 v28, 2, v30
	v_mul_u32_u24_e32 v30, 6, v12
	buffer_gl0_inv
	v_lshlrev_b32_e32 v14, 1, v14
	v_lshlrev_b32_e32 v12, 1, v12
	v_lshrrev_b32_e32 v61, 16, v24
	v_lshrrev_b32_e32 v57, 16, v16
	;; [unrolled: 1-line block ×12, first 2 shown]
	v_mul_f16_e32 v69, v41, v57
	v_mul_f16_e32 v57, v45, v57
	;; [unrolled: 1-line block ×24, first 2 shown]
	v_fmac_f16_e32 v69, v45, v16
	v_fma_f16 v16, v41, v16, -v57
	v_fmac_f16_e32 v70, v43, v17
	v_fma_f16 v17, v37, v17, -v58
	;; [unrolled: 2-line block ×7, first 2 shown]
	v_fmac_f16_e32 v76, v42, v21
	v_fmac_f16_e32 v79, v48, v26
	;; [unrolled: 1-line block ×3, first 2 shown]
	v_fma_f16 v27, v52, v27, -v68
	v_fma_f16 v21, v36, v21, -v64
	;; [unrolled: 1-line block ×3, first 2 shown]
	v_fmac_f16_e32 v77, v38, v22
	v_fma_f16 v22, v34, v22, -v65
	v_fmac_f16_e32 v78, v51, v23
	v_fma_f16 v23, v56, v23, -v66
	v_add_f16_e32 v32, v69, v74
	v_add_f16_e32 v33, v16, v25
	v_sub_f16_e32 v16, v16, v25
	v_add_f16_e32 v25, v70, v73
	v_add_f16_e32 v35, v17, v24
	v_sub_f16_e32 v17, v17, v24
	v_add_f16_e32 v37, v18, v19
	v_sub_f16_e32 v18, v19, v18
	v_add_f16_e32 v19, v75, v80
	v_add_f16_e32 v39, v20, v27
	v_sub_f16_e32 v20, v20, v27
	v_add_f16_e32 v27, v76, v79
	v_sub_f16_e32 v36, v70, v73
	;; [unrolled: 2-line block ×5, first 2 shown]
	v_add_f16_e32 v23, v25, v32
	v_add_f16_e32 v45, v35, v33
	v_sub_f16_e32 v34, v69, v74
	v_add_f16_e32 v26, v77, v78
	v_sub_f16_e32 v47, v35, v33
	v_sub_f16_e32 v33, v33, v37
	;; [unrolled: 1-line block ×3, first 2 shown]
	v_add_f16_e32 v50, v18, v17
	v_sub_f16_e32 v52, v18, v17
	v_sub_f16_e32 v17, v17, v16
	v_add_f16_e32 v53, v27, v19
	v_sub_f16_e32 v40, v75, v80
	v_sub_f16_e32 v42, v76, v79
	;; [unrolled: 1-line block ×6, first 2 shown]
	v_add_f16_e32 v48, v38, v36
	v_sub_f16_e32 v51, v38, v36
	v_add_f16_e32 v54, v41, v39
	v_add_f16_e32 v58, v22, v21
	v_sub_f16_e32 v60, v22, v21
	v_sub_f16_e32 v21, v21, v20
	v_add_f16_e32 v23, v24, v23
	v_add_f16_e32 v24, v37, v45
	v_sub_f16_e32 v36, v36, v34
	v_sub_f16_e32 v18, v16, v18
	;; [unrolled: 1-line block ×5, first 2 shown]
	v_add_f16_e32 v16, v50, v16
	v_mul_f16_e32 v33, 0x3a52, v33
	v_mul_f16_e32 v45, 0x2b26, v35
	;; [unrolled: 1-line block ×4, first 2 shown]
	v_add_f16_e32 v26, v26, v53
	v_sub_f16_e32 v38, v34, v38
	v_sub_f16_e32 v56, v41, v39
	;; [unrolled: 1-line block ×4, first 2 shown]
	v_add_f16_e32 v57, v44, v42
	v_sub_f16_e32 v59, v44, v42
	v_sub_f16_e32 v42, v42, v40
	v_add_f16_e32 v34, v48, v34
	v_mul_f16_e32 v32, 0x3a52, v32
	v_mul_f16_e32 v37, 0x2b26, v25
	v_mul_f16_e32 v48, 0x3846, v51
	v_add_f16_e32 v43, v43, v54
	v_sub_f16_e32 v22, v20, v22
	v_add_f16_e32 v20, v58, v20
	v_mul_f16_e32 v58, 0x3846, v60
	v_mul_f16_e32 v60, 0xbb00, v21
	v_add_f16_e32 v11, v11, v23
	v_add_f16_e32 v31, v31, v24
	v_mul_f16_e32 v51, 0xbb00, v36
	v_mul_f16_e32 v19, 0x3a52, v19
	;; [unrolled: 1-line block ×3, first 2 shown]
	v_fmamk_f16 v35, v35, 0x2b26, v33
	v_fma_f16 v45, v47, 0x39e0, -v45
	v_fma_f16 v33, v47, 0xb9e0, -v33
	v_fmamk_f16 v47, v18, 0xb574, v50
	v_fma_f16 v17, v17, 0xbb00, -v50
	v_fma_f16 v18, v18, 0x3574, -v52
	v_add_f16_e32 v10, v10, v26
	v_sub_f16_e32 v44, v40, v44
	v_add_f16_e32 v40, v57, v40
	v_mul_f16_e32 v39, 0x3a52, v39
	v_mul_f16_e32 v54, 0x2b26, v41
	v_mul_f16_e32 v57, 0x3846, v59
	v_mul_f16_e32 v59, 0xbb00, v42
	v_fmamk_f16 v25, v25, 0x2b26, v32
	v_fma_f16 v37, v46, 0x39e0, -v37
	v_fma_f16 v32, v46, 0xb9e0, -v32
	v_fmamk_f16 v46, v38, 0xb574, v48
	v_fma_f16 v36, v36, 0xbb00, -v48
	v_add_f16_e32 v48, v49, v43
	v_fmamk_f16 v52, v22, 0xb574, v58
	v_fma_f16 v21, v21, 0xbb00, -v58
	v_fma_f16 v22, v22, 0x3574, -v60
	v_fmamk_f16 v23, v23, 0xbcab, v11
	v_fmamk_f16 v24, v24, 0xbcab, v31
	v_fma_f16 v38, v38, 0x3574, -v51
	v_fmamk_f16 v27, v27, 0x2b26, v19
	v_fma_f16 v49, v55, 0x39e0, -v53
	v_fma_f16 v19, v55, 0xb9e0, -v19
	v_fmac_f16_e32 v47, 0xb70e, v16
	v_fmac_f16_e32 v17, 0xb70e, v16
	;; [unrolled: 1-line block ×3, first 2 shown]
	v_fmamk_f16 v16, v26, 0xbcab, v10
	v_fmamk_f16 v41, v41, 0x2b26, v39
	v_fma_f16 v50, v56, 0x39e0, -v54
	v_fma_f16 v39, v56, 0xb9e0, -v39
	v_fmamk_f16 v51, v44, 0xb574, v57
	v_fma_f16 v42, v42, 0xbb00, -v57
	v_fma_f16 v44, v44, 0x3574, -v59
	v_fmamk_f16 v26, v43, 0xbcab, v48
	v_fmac_f16_e32 v46, 0xb70e, v34
	v_fmac_f16_e32 v52, 0xb70e, v20
	;; [unrolled: 1-line block ×4, first 2 shown]
	v_add_f16_e32 v20, v25, v23
	v_add_f16_e32 v25, v35, v24
	v_fmac_f16_e32 v36, 0xb70e, v34
	v_fmac_f16_e32 v38, 0xb70e, v34
	v_add_f16_e32 v34, v37, v23
	v_add_f16_e32 v35, v45, v24
	;; [unrolled: 1-line block ×7, first 2 shown]
	v_fmac_f16_e32 v51, 0xb70e, v40
	v_fmac_f16_e32 v42, 0xb70e, v40
	;; [unrolled: 1-line block ×3, first 2 shown]
	v_add_f16_e32 v32, v41, v26
	v_add_f16_e32 v37, v50, v26
	;; [unrolled: 1-line block ×4, first 2 shown]
	v_sub_f16_e32 v39, v25, v46
	v_add_f16_e32 v40, v18, v23
	v_sub_f16_e32 v41, v24, v38
	v_sub_f16_e32 v43, v34, v17
	v_add_f16_e32 v45, v36, v35
	v_add_f16_e32 v17, v17, v34
	v_sub_f16_e32 v34, v35, v36
	v_sub_f16_e32 v18, v23, v18
	v_add_f16_e32 v23, v38, v24
	v_add_f16_e32 v24, v46, v25
	;; [unrolled: 1-line block ×3, first 2 shown]
	v_sub_f16_e32 v46, v33, v21
	v_sub_f16_e32 v20, v20, v47
	v_add_f16_e32 v25, v52, v27
	v_sub_f16_e32 v35, v32, v51
	v_sub_f16_e32 v38, v19, v44
	v_add_f16_e32 v47, v42, v37
	v_add_f16_e32 v21, v21, v33
	v_sub_f16_e32 v33, v37, v42
	v_sub_f16_e32 v16, v16, v22
	v_add_f16_e32 v19, v44, v19
	v_sub_f16_e32 v22, v27, v52
	v_add_f16_e32 v27, v51, v32
	ds_store_b16 v29, v11
	ds_store_b16 v29, v26 offset:8
	ds_store_b16 v29, v40 offset:16
	;; [unrolled: 1-line block ×6, first 2 shown]
	ds_store_b16 v9, v10
	ds_store_b16 v9, v25 offset:8
	ds_store_b16 v9, v36 offset:16
	ds_store_b16 v9, v46 offset:24
	ds_store_b16 v9, v21 offset:32
	ds_store_b16 v9, v16 offset:40
	ds_store_b16 v9, v22 offset:48
	s_waitcnt lgkmcnt(0)
	s_barrier
	buffer_gl0_inv
	ds_load_u16 v11, v0
	ds_load_u16 v26, v5 offset:1568
	ds_load_u16 v32, v5 offset:1372
	ds_load_u16 v36, v5 offset:1176
	ds_load_u16 v37, v5 offset:980
	ds_load_u16 v40, v5 offset:784
	ds_load_u16 v42, v5 offset:588
	ds_load_u16 v43, v5 offset:392
	ds_load_u16 v44, v5 offset:196
	ds_load_u16 v46, v5 offset:2548
	ds_load_u16 v49, v5 offset:2352
	ds_load_u16 v50, v5 offset:2156
	ds_load_u16 v51, v5 offset:1960
	ds_load_u16 v52, v5 offset:1764
	s_waitcnt lgkmcnt(0)
	s_barrier
	buffer_gl0_inv
	ds_store_b16 v29, v31
	ds_store_b16 v29, v39 offset:8
	ds_store_b16 v29, v41 offset:16
	;; [unrolled: 1-line block ×6, first 2 shown]
	ds_store_b16 v9, v48
	ds_store_b16 v9, v35 offset:8
	ds_store_b16 v9, v38 offset:16
	;; [unrolled: 1-line block ×6, first 2 shown]
	v_lshlrev_b32_e32 v24, 2, v30
	s_waitcnt lgkmcnt(0)
	s_barrier
	buffer_gl0_inv
	s_clause 0x3
	global_load_b128 v[16:19], v28, s[8:9] offset:104
	global_load_b64 v[9:10], v28, s[8:9] offset:120
	global_load_b128 v[20:23], v24, s[8:9] offset:104
	global_load_b64 v[24:25], v24, s[8:9] offset:120
	v_add3_u32 v27, v15, v14, v8
	v_add3_u32 v28, v13, v12, v8
	ds_load_u16 v8, v0
	ds_load_u16 v12, v5 offset:1568
	ds_load_u16 v13, v5 offset:1372
	;; [unrolled: 1-line block ×13, first 2 shown]
	s_waitcnt vmcnt(0) lgkmcnt(0)
	s_barrier
	buffer_gl0_inv
	v_lshrrev_b32_e32 v54, 16, v9
	v_lshrrev_b32_e32 v45, 16, v16
	;; [unrolled: 1-line block ×12, first 2 shown]
	v_mul_f16_e32 v62, v31, v45
	v_mul_f16_e32 v45, v43, v45
	;; [unrolled: 1-line block ×24, first 2 shown]
	v_fmac_f16_e32 v62, v43, v16
	v_fma_f16 v16, v31, v16, -v45
	v_fmac_f16_e32 v63, v40, v17
	v_fmac_f16_e32 v66, v51, v9
	v_fmac_f16_e32 v67, v49, v10
	v_fma_f16 v10, v35, v10, -v55
	v_fma_f16 v17, v29, v17, -v47
	v_fmac_f16_e32 v64, v36, v18
	v_fma_f16 v14, v14, v18, -v48
	v_fmac_f16_e32 v65, v26, v19
	v_fma_f16 v12, v12, v19, -v53
	v_fma_f16 v9, v39, v9, -v54
	v_fmac_f16_e32 v68, v42, v20
	v_fma_f16 v18, v30, v20, -v56
	v_fmac_f16_e32 v69, v37, v21
	;; [unrolled: 2-line block ×3, first 2 shown]
	v_fmac_f16_e32 v73, v46, v25
	v_fma_f16 v21, v34, v25, -v61
	v_fma_f16 v20, v38, v24, -v60
	v_fmac_f16_e32 v70, v32, v22
	v_fma_f16 v13, v13, v22, -v58
	v_fmac_f16_e32 v71, v52, v23
	v_fma_f16 v19, v41, v23, -v59
	v_add_f16_e32 v22, v62, v67
	v_add_f16_e32 v23, v16, v10
	v_sub_f16_e32 v10, v16, v10
	v_add_f16_e32 v16, v63, v66
	v_add_f16_e32 v25, v17, v9
	v_sub_f16_e32 v9, v17, v9
	;; [unrolled: 3-line block ×4, first 2 shown]
	v_add_f16_e32 v21, v69, v72
	v_add_f16_e32 v34, v15, v20
	;; [unrolled: 1-line block ×3, first 2 shown]
	v_sub_f16_e32 v13, v19, v13
	v_add_f16_e32 v19, v16, v22
	v_sub_f16_e32 v15, v15, v20
	v_sub_f16_e32 v24, v62, v67
	v_sub_f16_e32 v26, v63, v66
	v_sub_f16_e32 v30, v65, v64
	v_add_f16_e32 v20, v70, v71
	v_add_f16_e32 v38, v25, v23
	v_sub_f16_e32 v39, v16, v22
	v_sub_f16_e32 v40, v25, v23
	;; [unrolled: 1-line block ×6, first 2 shown]
	v_add_f16_e32 v42, v12, v9
	v_sub_f16_e32 v45, v12, v9
	v_sub_f16_e32 v9, v9, v10
	v_add_f16_e32 v46, v21, v14
	v_sub_f16_e32 v32, v68, v73
	v_sub_f16_e32 v35, v69, v72
	;; [unrolled: 1-line block ×3, first 2 shown]
	v_add_f16_e32 v47, v34, v31
	v_add_f16_e32 v17, v17, v19
	;; [unrolled: 1-line block ×3, first 2 shown]
	v_sub_f16_e32 v53, v13, v15
	v_sub_f16_e32 v15, v15, v18
	v_add_f16_e32 v41, v30, v26
	v_sub_f16_e32 v43, v30, v26
	v_sub_f16_e32 v12, v10, v12
	;; [unrolled: 1-line block ×6, first 2 shown]
	v_add_f16_e32 v19, v29, v38
	v_add_f16_e32 v10, v42, v10
	v_mul_f16_e32 v22, 0x3a52, v22
	v_mul_f16_e32 v23, 0x3a52, v23
	;; [unrolled: 1-line block ×6, first 2 shown]
	v_add_f16_e32 v20, v20, v46
	v_sub_f16_e32 v49, v34, v31
	v_sub_f16_e32 v31, v31, v36
	;; [unrolled: 1-line block ×3, first 2 shown]
	v_add_f16_e32 v50, v37, v35
	v_sub_f16_e32 v52, v37, v35
	v_sub_f16_e32 v35, v35, v32
	v_add_f16_e32 v36, v36, v47
	v_add_f16_e32 v11, v11, v17
	v_sub_f16_e32 v13, v18, v13
	v_add_f16_e32 v18, v51, v18
	v_mul_f16_e32 v51, 0x3846, v53
	v_mul_f16_e32 v53, 0xbb00, v15
	v_sub_f16_e32 v30, v24, v30
	v_add_f16_e32 v24, v41, v24
	v_mul_f16_e32 v41, 0x3846, v43
	v_mul_f16_e32 v43, 0xbb00, v26
	;; [unrolled: 1-line block ×4, first 2 shown]
	v_add_f16_e32 v54, v8, v19
	v_fmamk_f16 v8, v16, 0x2b26, v22
	v_fmamk_f16 v16, v25, 0x2b26, v23
	v_fma_f16 v25, v39, 0x39e0, -v29
	v_fma_f16 v29, v40, 0x39e0, -v38
	v_fma_f16 v22, v39, 0xb9e0, -v22
	v_fma_f16 v23, v40, 0xb9e0, -v23
	v_fmamk_f16 v39, v12, 0xb574, v42
	v_fma_f16 v9, v9, 0xbb00, -v42
	v_fma_f16 v12, v12, 0x3574, -v45
	v_add_f16_e32 v40, v44, v20
	v_sub_f16_e32 v37, v32, v37
	v_add_f16_e32 v32, v50, v32
	v_mul_f16_e32 v31, 0x3a52, v31
	v_mul_f16_e32 v47, 0x2b26, v34
	;; [unrolled: 1-line block ×4, first 2 shown]
	v_add_f16_e32 v33, v33, v36
	v_fmamk_f16 v17, v17, 0xbcab, v11
	v_fmamk_f16 v44, v13, 0xb574, v51
	v_fma_f16 v15, v15, 0xbb00, -v51
	v_fma_f16 v13, v13, 0x3574, -v53
	v_fmamk_f16 v38, v30, 0xb574, v41
	v_fma_f16 v26, v26, 0xbb00, -v41
	v_fma_f16 v30, v30, 0x3574, -v43
	v_fmamk_f16 v21, v21, 0x2b26, v14
	v_fma_f16 v41, v48, 0x39e0, -v46
	v_fma_f16 v14, v48, 0xb9e0, -v14
	v_fmamk_f16 v19, v19, 0xbcab, v54
	v_fmac_f16_e32 v39, 0xb70e, v10
	v_fmac_f16_e32 v9, 0xb70e, v10
	;; [unrolled: 1-line block ×3, first 2 shown]
	v_fmamk_f16 v10, v20, 0xbcab, v40
	v_fmamk_f16 v34, v34, 0x2b26, v31
	v_fma_f16 v42, v49, 0x39e0, -v47
	v_fma_f16 v31, v49, 0xb9e0, -v31
	v_fmamk_f16 v43, v37, 0xb574, v50
	v_fma_f16 v35, v35, 0xbb00, -v50
	v_fma_f16 v37, v37, 0x3574, -v52
	v_fmamk_f16 v20, v36, 0xbcab, v33
	v_add_f16_e32 v8, v8, v17
	v_fmac_f16_e32 v44, 0xb70e, v18
	v_fmac_f16_e32 v15, 0xb70e, v18
	;; [unrolled: 1-line block ×3, first 2 shown]
	v_add_f16_e32 v18, v25, v17
	v_add_f16_e32 v17, v22, v17
	v_fmac_f16_e32 v38, 0xb70e, v24
	v_fmac_f16_e32 v26, 0xb70e, v24
	;; [unrolled: 1-line block ×3, first 2 shown]
	v_add_f16_e32 v16, v16, v19
	v_add_f16_e32 v24, v29, v19
	;; [unrolled: 1-line block ×6, first 2 shown]
	v_fmac_f16_e32 v35, 0xb70e, v32
	v_fmac_f16_e32 v37, 0xb70e, v32
	v_add_f16_e32 v25, v42, v20
	v_add_f16_e32 v14, v31, v20
	;; [unrolled: 1-line block ×5, first 2 shown]
	v_sub_f16_e32 v34, v18, v9
	v_fmac_f16_e32 v43, 0xb70e, v32
	v_sub_f16_e32 v29, v16, v38
	v_sub_f16_e32 v32, v19, v30
	v_add_f16_e32 v36, v26, v24
	v_add_f16_e32 v9, v9, v18
	v_sub_f16_e32 v24, v24, v26
	v_sub_f16_e32 v12, v17, v12
	v_add_f16_e32 v26, v30, v19
	v_sub_f16_e32 v8, v8, v39
	v_add_f16_e32 v30, v38, v16
	v_add_f16_e32 v16, v44, v21
	;; [unrolled: 1-line block ×3, first 2 shown]
	v_sub_f16_e32 v18, v23, v15
	v_add_f16_e32 v15, v15, v23
	v_sub_f16_e32 v10, v10, v13
	v_sub_f16_e32 v13, v21, v44
	;; [unrolled: 1-line block ×3, first 2 shown]
	v_add_f16_e32 v41, v35, v25
	v_sub_f16_e32 v23, v25, v35
	v_add_f16_e32 v25, v37, v14
	ds_store_b16 v27, v11
	ds_store_b16 v27, v20 offset:56
	ds_store_b16 v27, v31 offset:112
	;; [unrolled: 1-line block ×6, first 2 shown]
	ds_store_b16 v28, v40
	ds_store_b16 v28, v16 offset:56
	ds_store_b16 v28, v17 offset:112
	;; [unrolled: 1-line block ×6, first 2 shown]
	s_waitcnt lgkmcnt(0)
	s_barrier
	buffer_gl0_inv
	ds_load_u16 v8, v0
	ds_load_u16 v10, v5 offset:1568
	ds_load_u16 v17, v5 offset:1372
	;; [unrolled: 1-line block ×13, first 2 shown]
	v_sub_f16_e32 v38, v22, v43
	v_add_f16_e32 v22, v43, v22
	s_waitcnt lgkmcnt(0)
	s_barrier
	buffer_gl0_inv
	ds_store_b16 v27, v54
	ds_store_b16 v27, v29 offset:56
	ds_store_b16 v27, v32 offset:112
	;; [unrolled: 1-line block ×6, first 2 shown]
	ds_store_b16 v28, v33
	ds_store_b16 v28, v38 offset:56
	ds_store_b16 v28, v39 offset:112
	;; [unrolled: 1-line block ×6, first 2 shown]
	s_waitcnt lgkmcnt(0)
	s_barrier
	buffer_gl0_inv
	s_and_saveexec_b32 s0, vcc_lo
	s_cbranch_execz .LBB0_15
; %bb.14:
	v_mul_u32_u24_e32 v6, 6, v6
	v_mul_u32_u24_e32 v26, 6, v7
	v_add_nc_u32_e32 v36, 0x62, v7
	v_mad_u64_u32 v[34:35], null, s2, v3, 0
	s_delay_alu instid0(VALU_DEP_4) | instskip(SKIP_1) | instid1(VALU_DEP_4)
	v_lshlrev_b32_e32 v6, 2, v6
	v_mul_lo_u32 v4, s2, v4
	v_mul_hi_u32 v37, 0x5397829d, v36
	s_clause 0x1
	global_load_b128 v[22:25], v6, s[8:9] offset:776
	global_load_b64 v[30:31], v6, s[8:9] offset:792
	v_lshlrev_b32_e32 v6, 2, v26
	s_clause 0x1
	global_load_b128 v[26:29], v6, s[8:9] offset:776
	global_load_b64 v[32:33], v6, s[8:9] offset:792
	v_mul_lo_u32 v6, s3, v3
	v_mul_hi_u32 v3, 0x5397829d, v7
	v_lshrrev_b32_e32 v37, 6, v37
	ds_load_u16 v48, v5 offset:1372
	ds_load_u16 v49, v5 offset:1176
	;; [unrolled: 1-line block ×13, first 2 shown]
	ds_load_u16 v61, v0
	v_mul_lo_u32 v38, 0xc4, v37
	v_add3_u32 v35, v35, v4, v6
	v_lshrrev_b32_e32 v3, 6, v3
	v_lshlrev_b64 v[0:1], 2, v[1:2]
	s_delay_alu instid0(VALU_DEP_2) | instskip(NEXT) | instid1(VALU_DEP_4)
	v_mul_lo_u32 v6, 0xc4, v3
	v_lshlrev_b64 v[3:4], 2, v[34:35]
	v_sub_nc_u32_e32 v5, v36, v38
	s_delay_alu instid0(VALU_DEP_3) | instskip(NEXT) | instid1(VALU_DEP_3)
	v_sub_nc_u32_e32 v6, v7, v6
	v_add_co_u32 v7, vcc_lo, s6, v3
	s_delay_alu instid0(VALU_DEP_4) | instskip(NEXT) | instid1(VALU_DEP_3)
	v_add_co_ci_u32_e32 v34, vcc_lo, s7, v4, vcc_lo
	v_lshlrev_b32_e32 v6, 2, v6
	s_delay_alu instid0(VALU_DEP_3) | instskip(NEXT) | instid1(VALU_DEP_3)
	v_add_co_u32 v7, vcc_lo, v7, v0
	v_add_co_ci_u32_e32 v62, vcc_lo, v34, v1, vcc_lo
	s_delay_alu instid0(VALU_DEP_3) | instskip(SKIP_1) | instid1(VALU_DEP_4)
	v_mad_u64_u32 v[3:4], null, 0x55c, v37, v[5:6]
	v_mov_b32_e32 v2, 0
	v_add_co_u32 v5, vcc_lo, v7, v6
	s_delay_alu instid0(VALU_DEP_4) | instskip(NEXT) | instid1(VALU_DEP_3)
	v_add_co_ci_u32_e32 v6, vcc_lo, 0, v62, vcc_lo
	v_dual_mov_b32 v4, v2 :: v_dual_add_nc_u32 v1, 0xc4, v3
	s_delay_alu instid0(VALU_DEP_3) | instskip(NEXT) | instid1(VALU_DEP_3)
	v_add_co_u32 v36, vcc_lo, 0x1000, v5
	v_add_co_ci_u32_e32 v37, vcc_lo, 0, v6, vcc_lo
	s_delay_alu instid0(VALU_DEP_3) | instskip(SKIP_2) | instid1(VALU_DEP_2)
	v_lshlrev_b64 v[38:39], 2, v[1:2]
	v_add_nc_u32_e32 v1, 0x188, v3
	v_lshlrev_b64 v[34:35], 2, v[3:4]
	v_lshlrev_b64 v[40:41], 2, v[1:2]
	v_add_nc_u32_e32 v1, 0x24c, v3
	s_delay_alu instid0(VALU_DEP_3) | instskip(NEXT) | instid1(VALU_DEP_4)
	v_add_co_u32 v34, vcc_lo, v7, v34
	v_add_co_ci_u32_e32 v35, vcc_lo, v62, v35, vcc_lo
	s_delay_alu instid0(VALU_DEP_3) | instskip(SKIP_3) | instid1(VALU_DEP_3)
	v_lshlrev_b64 v[42:43], 2, v[1:2]
	v_add_nc_u32_e32 v1, 0x310, v3
	v_add_co_u32 v38, vcc_lo, v7, v38
	v_add_co_ci_u32_e32 v39, vcc_lo, v62, v39, vcc_lo
	v_lshlrev_b64 v[44:45], 2, v[1:2]
	v_add_nc_u32_e32 v1, 0x3d4, v3
	v_add_co_u32 v40, vcc_lo, v7, v40
	v_add_co_ci_u32_e32 v41, vcc_lo, v62, v41, vcc_lo
	s_delay_alu instid0(VALU_DEP_3) | instskip(SKIP_4) | instid1(VALU_DEP_4)
	v_lshlrev_b64 v[46:47], 2, v[1:2]
	v_add_nc_u32_e32 v1, 0x498, v3
	v_add_co_u32 v42, vcc_lo, v7, v42
	v_add_co_ci_u32_e32 v43, vcc_lo, v62, v43, vcc_lo
	v_add_co_u32 v3, vcc_lo, v7, v44
	v_lshlrev_b64 v[0:1], 2, v[1:2]
	v_add_co_ci_u32_e32 v4, vcc_lo, v62, v45, vcc_lo
	v_add_co_u32 v44, vcc_lo, v7, v46
	v_add_co_ci_u32_e32 v45, vcc_lo, v62, v47, vcc_lo
	s_delay_alu instid0(VALU_DEP_4)
	v_add_co_u32 v0, vcc_lo, v7, v0
	v_add_co_ci_u32_e32 v1, vcc_lo, v62, v1, vcc_lo
	s_waitcnt vmcnt(3)
	v_lshrrev_b32_e32 v2, 16, v22
	v_lshrrev_b32_e32 v7, 16, v23
	;; [unrolled: 1-line block ×4, first 2 shown]
	v_mul_f16_e32 v62, v18, v22
	s_waitcnt vmcnt(2)
	v_lshrrev_b32_e32 v63, 16, v30
	v_lshrrev_b32_e32 v64, 16, v31
	v_mul_f16_e32 v65, v20, v31
	v_mul_f16_e32 v66, v21, v25
	;; [unrolled: 1-line block ×5, first 2 shown]
	s_waitcnt vmcnt(1)
	v_lshrrev_b32_e32 v70, 16, v26
	v_lshrrev_b32_e32 v71, 16, v27
	;; [unrolled: 1-line block ×4, first 2 shown]
	v_mul_f16_e32 v74, v13, v26
	s_waitcnt vmcnt(0)
	v_lshrrev_b32_e32 v75, 16, v32
	v_lshrrev_b32_e32 v76, 16, v33
	v_mul_f16_e32 v77, v16, v33
	v_mul_f16_e32 v78, v10, v29
	;; [unrolled: 1-line block ×5, first 2 shown]
	s_waitcnt lgkmcnt(9)
	v_fmac_f16_e32 v62, v52, v2
	s_waitcnt lgkmcnt(7)
	v_fmac_f16_e32 v65, v54, v64
	;; [unrolled: 2-line block ×3, first 2 shown]
	v_fmac_f16_e32 v67, v48, v46
	v_fmac_f16_e32 v68, v50, v7
	v_fmac_f16_e32 v69, v56, v63
	v_mul_f16_e32 v20, v20, v64
	v_mul_f16_e32 v2, v18, v2
	v_mul_f16_e32 v17, v17, v46
	v_mul_f16_e32 v18, v21, v47
	v_mul_f16_e32 v19, v19, v63
	v_mul_f16_e32 v7, v15, v7
	v_fmac_f16_e32 v74, v53, v70
	v_fmac_f16_e32 v77, v55, v76
	s_waitcnt lgkmcnt(2)
	v_fmac_f16_e32 v78, v59, v73
	v_fmac_f16_e32 v79, v49, v72
	;; [unrolled: 1-line block ×4, first 2 shown]
	v_mul_f16_e32 v15, v16, v76
	v_mul_f16_e32 v13, v13, v70
	;; [unrolled: 1-line block ×6, first 2 shown]
	v_sub_f16_e32 v16, v62, v65
	v_sub_f16_e32 v21, v66, v67
	;; [unrolled: 1-line block ×3, first 2 shown]
	v_fma_f16 v20, v54, v31, -v20
	v_fma_f16 v2, v52, v22, -v2
	v_fma_f16 v17, v48, v24, -v17
	v_fma_f16 v18, v58, v25, -v18
	v_fma_f16 v19, v56, v30, -v19
	v_fma_f16 v7, v50, v23, -v7
	v_add_f16_e32 v22, v62, v65
	v_add_f16_e32 v23, v66, v67
	v_add_f16_e32 v24, v68, v69
	v_sub_f16_e32 v25, v74, v77
	v_sub_f16_e32 v30, v78, v79
	;; [unrolled: 1-line block ×3, first 2 shown]
	v_fma_f16 v15, v55, v33, -v15
	v_fma_f16 v13, v53, v26, -v13
	;; [unrolled: 1-line block ×6, first 2 shown]
	v_add_f16_e32 v26, v74, v77
	v_add_f16_e32 v27, v78, v79
	;; [unrolled: 1-line block ×3, first 2 shown]
	v_sub_f16_e32 v29, v16, v21
	v_sub_f16_e32 v32, v21, v46
	v_add_f16_e32 v21, v21, v46
	v_add_f16_e32 v33, v2, v20
	;; [unrolled: 1-line block ×4, first 2 shown]
	v_sub_f16_e32 v49, v22, v23
	v_sub_f16_e32 v50, v23, v24
	v_add_f16_e32 v51, v22, v24
	v_sub_f16_e32 v2, v2, v20
	v_sub_f16_e32 v17, v18, v17
	;; [unrolled: 1-line block ×7, first 2 shown]
	v_add_f16_e32 v24, v30, v31
	v_add_f16_e32 v30, v13, v15
	;; [unrolled: 1-line block ×4, first 2 shown]
	v_sub_f16_e32 v53, v26, v27
	v_sub_f16_e32 v54, v27, v28
	v_add_f16_e32 v55, v26, v28
	v_sub_f16_e32 v13, v13, v15
	v_sub_f16_e32 v10, v10, v12
	;; [unrolled: 1-line block ×5, first 2 shown]
	v_mul_f16_e32 v15, 0x3846, v32
	v_add_f16_e32 v16, v16, v21
	v_sub_f16_e32 v21, v33, v47
	v_sub_f16_e32 v26, v47, v48
	v_add_f16_e32 v28, v33, v48
	v_mul_f16_e32 v31, 0x3a52, v49
	v_mul_f16_e32 v32, 0x2b26, v50
	v_add_f16_e32 v23, v23, v51
	v_sub_f16_e32 v50, v2, v17
	v_sub_f16_e32 v51, v17, v7
	v_add_f16_e32 v17, v17, v7
	v_mul_f16_e32 v56, 0xbb00, v18
	v_sub_f16_e32 v33, v48, v33
	v_sub_f16_e32 v7, v7, v2
	;; [unrolled: 1-line block ×3, first 2 shown]
	v_add_f16_e32 v57, v30, v52
	v_mul_f16_e32 v22, 0x3846, v22
	v_add_f16_e32 v24, v25, v24
	v_sub_f16_e32 v25, v30, v46
	v_mul_f16_e32 v58, 0x3a52, v53
	v_mul_f16_e32 v54, 0x2b26, v54
	v_add_f16_e32 v27, v27, v55
	v_sub_f16_e32 v55, v13, v10
	v_sub_f16_e32 v59, v10, v11
	v_add_f16_e32 v10, v10, v11
	v_mul_f16_e32 v62, 0xbb00, v12
	v_sub_f16_e32 v30, v52, v30
	v_sub_f16_e32 v11, v11, v13
	v_fmamk_f16 v52, v29, 0xb574, v15
	v_add_f16_e32 v28, v47, v28
	v_fmamk_f16 v47, v49, 0x3a52, v32
	v_add_f16_e32 v9, v9, v23
	v_mul_f16_e32 v49, 0x3846, v51
	v_add_f16_e32 v2, v2, v17
	v_fma_f16 v17, v29, 0x3574, -v56
	v_fma_f16 v29, v19, 0xb9e0, -v31
	v_mul_f16_e32 v31, 0xbb00, v7
	v_fma_f16 v15, v18, 0xbb00, -v15
	v_mul_f16_e32 v48, 0x2b26, v48
	v_add_f16_e32 v46, v46, v57
	v_mul_f16_e32 v63, 0x3a52, v21
	v_mul_f16_e32 v26, 0x2b26, v26
	v_fma_f16 v18, v19, 0x39e0, -v32
	v_fmamk_f16 v19, v20, 0xb574, v22
	v_mul_f16_e32 v32, 0x3a52, v25
	v_fmamk_f16 v51, v53, 0x3a52, v54
	v_add_f16_e32 v8, v8, v27
	v_mul_f16_e32 v53, 0x3846, v59
	v_add_f16_e32 v10, v13, v10
	v_fma_f16 v13, v20, 0x3574, -v62
	v_fma_f16 v20, v14, 0xb9e0, -v58
	v_mul_f16_e32 v56, 0xbb00, v11
	v_fma_f16 v12, v12, 0xbb00, -v22
	v_fma_f16 v14, v14, 0x39e0, -v54
	v_fmac_f16_e32 v52, 0xb70e, v16
	s_waitcnt lgkmcnt(1)
	v_add_f16_e32 v22, v60, v28
	v_fmamk_f16 v23, v23, 0xbcab, v9
	v_fmamk_f16 v54, v50, 0xb574, v49
	v_fmac_f16_e32 v17, 0xb70e, v16
	v_fma_f16 v31, v50, 0x3574, -v31
	v_fmac_f16_e32 v15, 0xb70e, v16
	v_fma_f16 v7, v7, 0xbb00, -v49
	v_fmamk_f16 v16, v25, 0x3a52, v48
	s_waitcnt lgkmcnt(0)
	v_add_f16_e32 v25, v61, v46
	v_fmamk_f16 v21, v21, 0x3a52, v26
	v_fma_f16 v57, v33, 0xb9e0, -v63
	v_fma_f16 v26, v33, 0x39e0, -v26
	v_fmac_f16_e32 v19, 0xb70e, v24
	v_fmamk_f16 v27, v27, 0xbcab, v8
	v_fmamk_f16 v33, v55, 0xb574, v53
	v_fmac_f16_e32 v13, 0xb70e, v24
	v_fma_f16 v49, v55, 0x3574, -v56
	v_fmac_f16_e32 v12, 0xb70e, v24
	v_fma_f16 v11, v11, 0xbb00, -v53
	v_fmamk_f16 v24, v28, 0xbcab, v22
	v_fmac_f16_e32 v54, 0xb70e, v2
	v_fmac_f16_e32 v31, 0xb70e, v2
	;; [unrolled: 1-line block ×3, first 2 shown]
	v_add_f16_e32 v2, v18, v23
	v_fmamk_f16 v18, v46, 0xbcab, v25
	v_fma_f16 v32, v30, 0xb9e0, -v32
	v_add_f16_e32 v29, v29, v23
	v_fma_f16 v30, v30, 0x39e0, -v48
	v_add_f16_e32 v28, v47, v23
	v_add_f16_e32 v23, v51, v27
	v_fmac_f16_e32 v33, 0xb70e, v10
	v_add_f16_e32 v20, v20, v27
	v_fmac_f16_e32 v49, 0xb70e, v10
	v_fmac_f16_e32 v11, 0xb70e, v10
	v_add_f16_e32 v10, v14, v27
	v_pack_b32_f16 v9, v9, v22
	v_add_f16_e32 v22, v57, v24
	v_add_f16_e32 v16, v16, v18
	v_pack_b32_f16 v8, v8, v25
	v_add_f16_e32 v14, v21, v24
	v_sub_f16_e32 v25, v29, v31
	v_add_f16_e32 v24, v26, v24
	v_add_f16_e32 v26, v7, v2
	v_sub_f16_e32 v2, v2, v7
	v_add_f16_e32 v7, v31, v29
	v_add_f16_e32 v29, v32, v18
	;; [unrolled: 1-line block ×3, first 2 shown]
	v_sub_f16_e32 v31, v20, v49
	v_add_f16_e32 v30, v11, v10
	v_sub_f16_e32 v10, v10, v11
	v_add_f16_e32 v11, v49, v20
	v_add_f16_e32 v20, v33, v23
	;; [unrolled: 1-line block ×3, first 2 shown]
	v_sub_f16_e32 v17, v22, v17
	v_add_f16_e32 v22, v19, v16
	v_sub_f16_e32 v16, v16, v19
	v_sub_f16_e32 v19, v29, v13
	;; [unrolled: 1-line block ×3, first 2 shown]
	v_add_f16_e32 v27, v54, v28
	v_sub_f16_e32 v28, v23, v33
	v_sub_f16_e32 v33, v24, v15
	v_add_f16_e32 v15, v15, v24
	v_add_f16_e32 v24, v12, v18
	v_sub_f16_e32 v12, v18, v12
	v_add_f16_e32 v23, v52, v14
	v_sub_f16_e32 v14, v14, v52
	v_add_f16_e32 v13, v13, v29
	v_pack_b32_f16 v16, v20, v16
	v_pack_b32_f16 v11, v11, v19
	;; [unrolled: 1-line block ×12, first 2 shown]
	s_clause 0xd
	global_store_b32 v[5:6], v8, off
	global_store_b32 v[5:6], v16, off offset:784
	global_store_b32 v[5:6], v11, off offset:1568
	;; [unrolled: 1-line block ×6, first 2 shown]
	global_store_b32 v[34:35], v9, off
	global_store_b32 v[38:39], v14, off
	;; [unrolled: 1-line block ×7, first 2 shown]
.LBB0_15:
	s_nop 0
	s_sendmsg sendmsg(MSG_DEALLOC_VGPRS)
	s_endpgm
	.section	.rodata,"a",@progbits
	.p2align	6, 0x0
	.amdhsa_kernel fft_rtc_back_len1372_factors_2_2_7_7_7_wgs_196_tpt_98_halfLds_half_op_CI_CI_unitstride_sbrr_dirReg
		.amdhsa_group_segment_fixed_size 0
		.amdhsa_private_segment_fixed_size 0
		.amdhsa_kernarg_size 104
		.amdhsa_user_sgpr_count 15
		.amdhsa_user_sgpr_dispatch_ptr 0
		.amdhsa_user_sgpr_queue_ptr 0
		.amdhsa_user_sgpr_kernarg_segment_ptr 1
		.amdhsa_user_sgpr_dispatch_id 0
		.amdhsa_user_sgpr_private_segment_size 0
		.amdhsa_wavefront_size32 1
		.amdhsa_uses_dynamic_stack 0
		.amdhsa_enable_private_segment 0
		.amdhsa_system_sgpr_workgroup_id_x 1
		.amdhsa_system_sgpr_workgroup_id_y 0
		.amdhsa_system_sgpr_workgroup_id_z 0
		.amdhsa_system_sgpr_workgroup_info 0
		.amdhsa_system_vgpr_workitem_id 0
		.amdhsa_next_free_vgpr 82
		.amdhsa_next_free_sgpr 27
		.amdhsa_reserve_vcc 1
		.amdhsa_float_round_mode_32 0
		.amdhsa_float_round_mode_16_64 0
		.amdhsa_float_denorm_mode_32 3
		.amdhsa_float_denorm_mode_16_64 3
		.amdhsa_dx10_clamp 1
		.amdhsa_ieee_mode 1
		.amdhsa_fp16_overflow 0
		.amdhsa_workgroup_processor_mode 1
		.amdhsa_memory_ordered 1
		.amdhsa_forward_progress 0
		.amdhsa_shared_vgpr_count 0
		.amdhsa_exception_fp_ieee_invalid_op 0
		.amdhsa_exception_fp_denorm_src 0
		.amdhsa_exception_fp_ieee_div_zero 0
		.amdhsa_exception_fp_ieee_overflow 0
		.amdhsa_exception_fp_ieee_underflow 0
		.amdhsa_exception_fp_ieee_inexact 0
		.amdhsa_exception_int_div_zero 0
	.end_amdhsa_kernel
	.text
.Lfunc_end0:
	.size	fft_rtc_back_len1372_factors_2_2_7_7_7_wgs_196_tpt_98_halfLds_half_op_CI_CI_unitstride_sbrr_dirReg, .Lfunc_end0-fft_rtc_back_len1372_factors_2_2_7_7_7_wgs_196_tpt_98_halfLds_half_op_CI_CI_unitstride_sbrr_dirReg
                                        ; -- End function
	.section	.AMDGPU.csdata,"",@progbits
; Kernel info:
; codeLenInByte = 9464
; NumSgprs: 29
; NumVgprs: 82
; ScratchSize: 0
; MemoryBound: 0
; FloatMode: 240
; IeeeMode: 1
; LDSByteSize: 0 bytes/workgroup (compile time only)
; SGPRBlocks: 3
; VGPRBlocks: 10
; NumSGPRsForWavesPerEU: 29
; NumVGPRsForWavesPerEU: 82
; Occupancy: 16
; WaveLimiterHint : 1
; COMPUTE_PGM_RSRC2:SCRATCH_EN: 0
; COMPUTE_PGM_RSRC2:USER_SGPR: 15
; COMPUTE_PGM_RSRC2:TRAP_HANDLER: 0
; COMPUTE_PGM_RSRC2:TGID_X_EN: 1
; COMPUTE_PGM_RSRC2:TGID_Y_EN: 0
; COMPUTE_PGM_RSRC2:TGID_Z_EN: 0
; COMPUTE_PGM_RSRC2:TIDIG_COMP_CNT: 0
	.text
	.p2alignl 7, 3214868480
	.fill 96, 4, 3214868480
	.type	__hip_cuid_33ddecad90211e09,@object ; @__hip_cuid_33ddecad90211e09
	.section	.bss,"aw",@nobits
	.globl	__hip_cuid_33ddecad90211e09
__hip_cuid_33ddecad90211e09:
	.byte	0                               ; 0x0
	.size	__hip_cuid_33ddecad90211e09, 1

	.ident	"AMD clang version 19.0.0git (https://github.com/RadeonOpenCompute/llvm-project roc-6.4.0 25133 c7fe45cf4b819c5991fe208aaa96edf142730f1d)"
	.section	".note.GNU-stack","",@progbits
	.addrsig
	.addrsig_sym __hip_cuid_33ddecad90211e09
	.amdgpu_metadata
---
amdhsa.kernels:
  - .args:
      - .actual_access:  read_only
        .address_space:  global
        .offset:         0
        .size:           8
        .value_kind:     global_buffer
      - .offset:         8
        .size:           8
        .value_kind:     by_value
      - .actual_access:  read_only
        .address_space:  global
        .offset:         16
        .size:           8
        .value_kind:     global_buffer
      - .actual_access:  read_only
        .address_space:  global
        .offset:         24
        .size:           8
        .value_kind:     global_buffer
      - .actual_access:  read_only
        .address_space:  global
        .offset:         32
        .size:           8
        .value_kind:     global_buffer
      - .offset:         40
        .size:           8
        .value_kind:     by_value
      - .actual_access:  read_only
        .address_space:  global
        .offset:         48
        .size:           8
        .value_kind:     global_buffer
      - .actual_access:  read_only
        .address_space:  global
        .offset:         56
        .size:           8
        .value_kind:     global_buffer
      - .offset:         64
        .size:           4
        .value_kind:     by_value
      - .actual_access:  read_only
        .address_space:  global
        .offset:         72
        .size:           8
        .value_kind:     global_buffer
      - .actual_access:  read_only
        .address_space:  global
        .offset:         80
        .size:           8
        .value_kind:     global_buffer
      - .actual_access:  read_only
        .address_space:  global
        .offset:         88
        .size:           8
        .value_kind:     global_buffer
      - .actual_access:  write_only
        .address_space:  global
        .offset:         96
        .size:           8
        .value_kind:     global_buffer
    .group_segment_fixed_size: 0
    .kernarg_segment_align: 8
    .kernarg_segment_size: 104
    .language:       OpenCL C
    .language_version:
      - 2
      - 0
    .max_flat_workgroup_size: 196
    .name:           fft_rtc_back_len1372_factors_2_2_7_7_7_wgs_196_tpt_98_halfLds_half_op_CI_CI_unitstride_sbrr_dirReg
    .private_segment_fixed_size: 0
    .sgpr_count:     29
    .sgpr_spill_count: 0
    .symbol:         fft_rtc_back_len1372_factors_2_2_7_7_7_wgs_196_tpt_98_halfLds_half_op_CI_CI_unitstride_sbrr_dirReg.kd
    .uniform_work_group_size: 1
    .uses_dynamic_stack: false
    .vgpr_count:     82
    .vgpr_spill_count: 0
    .wavefront_size: 32
    .workgroup_processor_mode: 1
amdhsa.target:   amdgcn-amd-amdhsa--gfx1100
amdhsa.version:
  - 1
  - 2
...

	.end_amdgpu_metadata
